;; amdgpu-corpus repo=ROCm/rocFFT kind=compiled arch=gfx906 opt=O3
	.text
	.amdgcn_target "amdgcn-amd-amdhsa--gfx906"
	.amdhsa_code_object_version 6
	.protected	fft_rtc_back_len972_factors_3_6_3_6_3_wgs_162_tpt_162_halfLds_half_ip_CI_unitstride_sbrr_C2R_dirReg ; -- Begin function fft_rtc_back_len972_factors_3_6_3_6_3_wgs_162_tpt_162_halfLds_half_ip_CI_unitstride_sbrr_C2R_dirReg
	.globl	fft_rtc_back_len972_factors_3_6_3_6_3_wgs_162_tpt_162_halfLds_half_ip_CI_unitstride_sbrr_C2R_dirReg
	.p2align	8
	.type	fft_rtc_back_len972_factors_3_6_3_6_3_wgs_162_tpt_162_halfLds_half_ip_CI_unitstride_sbrr_C2R_dirReg,@function
fft_rtc_back_len972_factors_3_6_3_6_3_wgs_162_tpt_162_halfLds_half_ip_CI_unitstride_sbrr_C2R_dirReg: ; @fft_rtc_back_len972_factors_3_6_3_6_3_wgs_162_tpt_162_halfLds_half_ip_CI_unitstride_sbrr_C2R_dirReg
; %bb.0:
	s_load_dwordx2 s[2:3], s[4:5], 0x50
	s_load_dwordx4 s[8:11], s[4:5], 0x0
	s_load_dwordx2 s[12:13], s[4:5], 0x18
	v_mul_u32_u24_e32 v1, 0x195, v0
	v_add_u32_sdwa v5, s6, v1 dst_sel:DWORD dst_unused:UNUSED_PAD src0_sel:DWORD src1_sel:WORD_1
	v_mov_b32_e32 v3, 0
	s_waitcnt lgkmcnt(0)
	v_cmp_lt_u64_e64 s[0:1], s[10:11], 2
	v_mov_b32_e32 v1, 0
	v_mov_b32_e32 v6, v3
	s_and_b64 vcc, exec, s[0:1]
	v_mov_b32_e32 v2, 0
	s_cbranch_vccnz .LBB0_8
; %bb.1:
	s_load_dwordx2 s[0:1], s[4:5], 0x10
	s_add_u32 s6, s12, 8
	s_addc_u32 s7, s13, 0
	v_mov_b32_e32 v1, 0
	v_mov_b32_e32 v2, 0
	s_waitcnt lgkmcnt(0)
	s_add_u32 s14, s0, 8
	s_addc_u32 s15, s1, 0
	s_mov_b64 s[16:17], 1
.LBB0_2:                                ; =>This Inner Loop Header: Depth=1
	s_load_dwordx2 s[18:19], s[14:15], 0x0
                                        ; implicit-def: $vgpr7_vgpr8
	s_waitcnt lgkmcnt(0)
	v_or_b32_e32 v4, s19, v6
	v_cmp_ne_u64_e32 vcc, 0, v[3:4]
	s_and_saveexec_b64 s[0:1], vcc
	s_xor_b64 s[20:21], exec, s[0:1]
	s_cbranch_execz .LBB0_4
; %bb.3:                                ;   in Loop: Header=BB0_2 Depth=1
	v_cvt_f32_u32_e32 v4, s18
	v_cvt_f32_u32_e32 v7, s19
	s_sub_u32 s0, 0, s18
	s_subb_u32 s1, 0, s19
	v_mac_f32_e32 v4, 0x4f800000, v7
	v_rcp_f32_e32 v4, v4
	v_mul_f32_e32 v4, 0x5f7ffffc, v4
	v_mul_f32_e32 v7, 0x2f800000, v4
	v_trunc_f32_e32 v7, v7
	v_mac_f32_e32 v4, 0xcf800000, v7
	v_cvt_u32_f32_e32 v7, v7
	v_cvt_u32_f32_e32 v4, v4
	v_mul_lo_u32 v8, s0, v7
	v_mul_hi_u32 v9, s0, v4
	v_mul_lo_u32 v11, s1, v4
	v_mul_lo_u32 v10, s0, v4
	v_add_u32_e32 v8, v9, v8
	v_add_u32_e32 v8, v8, v11
	v_mul_hi_u32 v9, v4, v10
	v_mul_lo_u32 v11, v4, v8
	v_mul_hi_u32 v13, v4, v8
	v_mul_hi_u32 v12, v7, v10
	v_mul_lo_u32 v10, v7, v10
	v_mul_hi_u32 v14, v7, v8
	v_add_co_u32_e32 v9, vcc, v9, v11
	v_addc_co_u32_e32 v11, vcc, 0, v13, vcc
	v_mul_lo_u32 v8, v7, v8
	v_add_co_u32_e32 v9, vcc, v9, v10
	v_addc_co_u32_e32 v9, vcc, v11, v12, vcc
	v_addc_co_u32_e32 v10, vcc, 0, v14, vcc
	v_add_co_u32_e32 v8, vcc, v9, v8
	v_addc_co_u32_e32 v9, vcc, 0, v10, vcc
	v_add_co_u32_e32 v4, vcc, v4, v8
	v_addc_co_u32_e32 v7, vcc, v7, v9, vcc
	v_mul_lo_u32 v8, s0, v7
	v_mul_hi_u32 v9, s0, v4
	v_mul_lo_u32 v10, s1, v4
	v_mul_lo_u32 v11, s0, v4
	v_add_u32_e32 v8, v9, v8
	v_add_u32_e32 v8, v8, v10
	v_mul_lo_u32 v12, v4, v8
	v_mul_hi_u32 v13, v4, v11
	v_mul_hi_u32 v14, v4, v8
	;; [unrolled: 1-line block ×3, first 2 shown]
	v_mul_lo_u32 v11, v7, v11
	v_mul_hi_u32 v9, v7, v8
	v_add_co_u32_e32 v12, vcc, v13, v12
	v_addc_co_u32_e32 v13, vcc, 0, v14, vcc
	v_mul_lo_u32 v8, v7, v8
	v_add_co_u32_e32 v11, vcc, v12, v11
	v_addc_co_u32_e32 v10, vcc, v13, v10, vcc
	v_addc_co_u32_e32 v9, vcc, 0, v9, vcc
	v_add_co_u32_e32 v8, vcc, v10, v8
	v_addc_co_u32_e32 v9, vcc, 0, v9, vcc
	v_add_co_u32_e32 v4, vcc, v4, v8
	v_addc_co_u32_e32 v9, vcc, v7, v9, vcc
	v_mad_u64_u32 v[7:8], s[0:1], v5, v9, 0
	v_mul_hi_u32 v10, v5, v4
	v_add_co_u32_e32 v11, vcc, v10, v7
	v_addc_co_u32_e32 v12, vcc, 0, v8, vcc
	v_mad_u64_u32 v[7:8], s[0:1], v6, v4, 0
	v_mad_u64_u32 v[9:10], s[0:1], v6, v9, 0
	v_add_co_u32_e32 v4, vcc, v11, v7
	v_addc_co_u32_e32 v4, vcc, v12, v8, vcc
	v_addc_co_u32_e32 v7, vcc, 0, v10, vcc
	v_add_co_u32_e32 v4, vcc, v4, v9
	v_addc_co_u32_e32 v9, vcc, 0, v7, vcc
	v_mul_lo_u32 v10, s19, v4
	v_mul_lo_u32 v11, s18, v9
	v_mad_u64_u32 v[7:8], s[0:1], s18, v4, 0
	v_add3_u32 v8, v8, v11, v10
	v_sub_u32_e32 v10, v6, v8
	v_mov_b32_e32 v11, s19
	v_sub_co_u32_e32 v7, vcc, v5, v7
	v_subb_co_u32_e64 v10, s[0:1], v10, v11, vcc
	v_subrev_co_u32_e64 v11, s[0:1], s18, v7
	v_subbrev_co_u32_e64 v10, s[0:1], 0, v10, s[0:1]
	v_cmp_le_u32_e64 s[0:1], s19, v10
	v_cndmask_b32_e64 v12, 0, -1, s[0:1]
	v_cmp_le_u32_e64 s[0:1], s18, v11
	v_cndmask_b32_e64 v11, 0, -1, s[0:1]
	v_cmp_eq_u32_e64 s[0:1], s19, v10
	v_cndmask_b32_e64 v10, v12, v11, s[0:1]
	v_add_co_u32_e64 v11, s[0:1], 2, v4
	v_addc_co_u32_e64 v12, s[0:1], 0, v9, s[0:1]
	v_add_co_u32_e64 v13, s[0:1], 1, v4
	v_addc_co_u32_e64 v14, s[0:1], 0, v9, s[0:1]
	v_subb_co_u32_e32 v8, vcc, v6, v8, vcc
	v_cmp_ne_u32_e64 s[0:1], 0, v10
	v_cmp_le_u32_e32 vcc, s19, v8
	v_cndmask_b32_e64 v10, v14, v12, s[0:1]
	v_cndmask_b32_e64 v12, 0, -1, vcc
	v_cmp_le_u32_e32 vcc, s18, v7
	v_cndmask_b32_e64 v7, 0, -1, vcc
	v_cmp_eq_u32_e32 vcc, s19, v8
	v_cndmask_b32_e32 v7, v12, v7, vcc
	v_cmp_ne_u32_e32 vcc, 0, v7
	v_cndmask_b32_e64 v7, v13, v11, s[0:1]
	v_cndmask_b32_e32 v8, v9, v10, vcc
	v_cndmask_b32_e32 v7, v4, v7, vcc
.LBB0_4:                                ;   in Loop: Header=BB0_2 Depth=1
	s_andn2_saveexec_b64 s[0:1], s[20:21]
	s_cbranch_execz .LBB0_6
; %bb.5:                                ;   in Loop: Header=BB0_2 Depth=1
	v_cvt_f32_u32_e32 v4, s18
	s_sub_i32 s20, 0, s18
	v_rcp_iflag_f32_e32 v4, v4
	v_mul_f32_e32 v4, 0x4f7ffffe, v4
	v_cvt_u32_f32_e32 v4, v4
	v_mul_lo_u32 v7, s20, v4
	v_mul_hi_u32 v7, v4, v7
	v_add_u32_e32 v4, v4, v7
	v_mul_hi_u32 v4, v5, v4
	v_mul_lo_u32 v7, v4, s18
	v_add_u32_e32 v8, 1, v4
	v_sub_u32_e32 v7, v5, v7
	v_subrev_u32_e32 v9, s18, v7
	v_cmp_le_u32_e32 vcc, s18, v7
	v_cndmask_b32_e32 v7, v7, v9, vcc
	v_cndmask_b32_e32 v4, v4, v8, vcc
	v_add_u32_e32 v8, 1, v4
	v_cmp_le_u32_e32 vcc, s18, v7
	v_cndmask_b32_e32 v7, v4, v8, vcc
	v_mov_b32_e32 v8, v3
.LBB0_6:                                ;   in Loop: Header=BB0_2 Depth=1
	s_or_b64 exec, exec, s[0:1]
	v_mul_lo_u32 v4, v8, s18
	v_mul_lo_u32 v11, v7, s19
	v_mad_u64_u32 v[9:10], s[0:1], v7, s18, 0
	s_load_dwordx2 s[0:1], s[6:7], 0x0
	s_add_u32 s16, s16, 1
	v_add3_u32 v4, v10, v11, v4
	v_sub_co_u32_e32 v5, vcc, v5, v9
	v_subb_co_u32_e32 v4, vcc, v6, v4, vcc
	s_waitcnt lgkmcnt(0)
	v_mul_lo_u32 v4, s0, v4
	v_mul_lo_u32 v6, s1, v5
	v_mad_u64_u32 v[1:2], s[0:1], s0, v5, v[1:2]
	s_addc_u32 s17, s17, 0
	s_add_u32 s6, s6, 8
	v_add3_u32 v2, v6, v2, v4
	v_mov_b32_e32 v4, s10
	v_mov_b32_e32 v5, s11
	s_addc_u32 s7, s7, 0
	v_cmp_ge_u64_e32 vcc, s[16:17], v[4:5]
	s_add_u32 s14, s14, 8
	s_addc_u32 s15, s15, 0
	s_cbranch_vccnz .LBB0_9
; %bb.7:                                ;   in Loop: Header=BB0_2 Depth=1
	v_mov_b32_e32 v5, v7
	v_mov_b32_e32 v6, v8
	s_branch .LBB0_2
.LBB0_8:
	v_mov_b32_e32 v8, v6
	v_mov_b32_e32 v7, v5
.LBB0_9:
	s_lshl_b64 s[0:1], s[10:11], 3
	s_add_u32 s0, s12, s0
	s_addc_u32 s1, s13, s1
	s_load_dwordx2 s[6:7], s[0:1], 0x0
	s_load_dwordx2 s[10:11], s[4:5], 0x20
	s_waitcnt lgkmcnt(0)
	v_mad_u64_u32 v[1:2], s[0:1], s6, v7, v[1:2]
	v_mul_lo_u32 v3, s6, v8
	v_mul_lo_u32 v4, s7, v7
	s_mov_b32 s0, 0x1948b10
	v_mul_hi_u32 v5, v0, s0
	v_cmp_gt_u64_e32 vcc, s[10:11], v[7:8]
	v_add3_u32 v2, v4, v2, v3
	v_lshlrev_b64 v[2:3], 2, v[1:2]
	v_mul_u32_u24_e32 v4, 0xa2, v5
	v_sub_u32_e32 v0, v0, v4
	s_and_saveexec_b64 s[4:5], vcc
	s_cbranch_execz .LBB0_13
; %bb.10:
	v_mov_b32_e32 v1, 0
	v_mov_b32_e32 v5, s3
	v_add_co_u32_e64 v4, s[0:1], s2, v2
	v_lshlrev_b64 v[6:7], 2, v[0:1]
	v_addc_co_u32_e64 v5, s[0:1], v5, v3, s[0:1]
	v_add_co_u32_e64 v6, s[0:1], v4, v6
	v_addc_co_u32_e64 v7, s[0:1], v5, v7, s[0:1]
	global_load_dword v8, v[6:7], off
	global_load_dword v9, v[6:7], off offset:648
	global_load_dword v10, v[6:7], off offset:1296
	global_load_dword v11, v[6:7], off offset:1944
	global_load_dword v12, v[6:7], off offset:2592
	global_load_dword v13, v[6:7], off offset:3240
	s_movk_i32 s0, 0xa1
	v_lshl_add_u32 v6, v0, 2, 0
	v_cmp_eq_u32_e64 s[0:1], s0, v0
	v_add_u32_e32 v7, 0x400, v6
	v_add_u32_e32 v14, 0xa00, v6
	s_waitcnt vmcnt(4)
	ds_write2_b32 v6, v8, v9 offset1:162
	s_waitcnt vmcnt(2)
	ds_write2_b32 v7, v10, v11 offset0:68 offset1:230
	s_waitcnt vmcnt(0)
	ds_write2_b32 v14, v12, v13 offset0:8 offset1:170
	s_and_saveexec_b64 s[6:7], s[0:1]
	s_cbranch_execz .LBB0_12
; %bb.11:
	global_load_dword v0, v[4:5], off offset:3888
	s_waitcnt vmcnt(0)
	ds_write_b32 v1, v0 offset:3888
	v_mov_b32_e32 v0, 0xa1
.LBB0_12:
	s_or_b64 exec, exec, s[6:7]
.LBB0_13:
	s_or_b64 exec, exec, s[4:5]
	v_lshlrev_b32_e32 v1, 2, v0
	v_add_u32_e32 v6, 0, v1
	s_waitcnt lgkmcnt(0)
	s_barrier
	v_sub_u32_e32 v8, 0, v1
	ds_read_u16 v7, v6
	ds_read_u16 v11, v8 offset:3888
	v_cmp_ne_u32_e64 s[0:1], 0, v0
                                        ; implicit-def: $vgpr4_vgpr5
	s_waitcnt lgkmcnt(0)
	v_add_f16_e32 v9, v11, v7
	v_sub_f16_e32 v10, v7, v11
	s_and_saveexec_b64 s[4:5], s[0:1]
	s_xor_b64 s[4:5], exec, s[4:5]
	s_cbranch_execz .LBB0_15
; %bb.14:
	v_mov_b32_e32 v1, 0
	v_lshlrev_b64 v[4:5], 2, v[0:1]
	v_mov_b32_e32 v9, s9
	v_add_co_u32_e64 v4, s[0:1], s8, v4
	v_addc_co_u32_e64 v5, s[0:1], v9, v5, s[0:1]
	global_load_dword v4, v[4:5], off offset:3876
	ds_read_u16 v5, v8 offset:3890
	ds_read_u16 v9, v6 offset:2
	v_add_f16_e32 v10, v11, v7
	v_sub_f16_e32 v7, v7, v11
	s_waitcnt lgkmcnt(0)
	v_add_f16_e32 v11, v5, v9
	v_sub_f16_e32 v5, v9, v5
	s_waitcnt vmcnt(0)
	v_lshrrev_b32_e32 v9, 16, v4
	v_fma_f16 v12, v7, v9, v10
	v_fma_f16 v13, v11, v9, v5
	v_fma_f16 v14, -v7, v9, v10
	v_fma_f16 v5, v11, v9, -v5
	v_fma_f16 v9, -v4, v11, v12
	v_fma_f16 v10, v7, v4, v13
	v_fma_f16 v11, v4, v11, v14
	;; [unrolled: 1-line block ×3, first 2 shown]
	v_pack_b32_f16 v4, v11, v4
	ds_write_b32 v8, v4 offset:3888
	v_mov_b32_e32 v5, v1
	v_mov_b32_e32 v4, v0
.LBB0_15:
	s_andn2_saveexec_b64 s[0:1], s[4:5]
	s_cbranch_execz .LBB0_17
; %bb.16:
	v_mov_b32_e32 v1, 0
	ds_read_b32 v4, v1 offset:1944
	s_mov_b32 s4, 0xc0004000
	s_waitcnt lgkmcnt(0)
	v_pk_mul_f16 v7, v4, s4
	v_mov_b32_e32 v4, 0
	v_mov_b32_e32 v5, 0
	ds_write_b32 v1, v7 offset:1944
.LBB0_17:
	s_or_b64 exec, exec, s[0:1]
	s_add_u32 s0, s8, 0xf24
	v_lshlrev_b64 v[4:5], 2, v[4:5]
	s_addc_u32 s1, s9, 0
	v_mov_b32_e32 v1, s1
	v_add_co_u32_e64 v4, s[0:1], s0, v4
	v_addc_co_u32_e64 v5, s[0:1], v1, v5, s[0:1]
	global_load_dword v11, v[4:5], off offset:648
	global_load_dword v12, v[4:5], off offset:1296
	s_mov_b32 s0, 0x5040100
	v_perm_b32 v9, v10, v9, s0
	ds_write_b32 v6, v9
	ds_read_b32 v9, v6 offset:648
	ds_read_b32 v10, v8 offset:3240
	s_movk_i32 s5, 0xab
	v_mul_lo_u16_sdwa v13, v0, s5 dst_sel:DWORD dst_unused:UNUSED_PAD src0_sel:BYTE_0 src1_sel:DWORD
	v_lshrrev_b16_e32 v15, 9, v13
	v_mul_lo_u16_e32 v13, 3, v15
	s_waitcnt lgkmcnt(0)
	v_add_f16_e32 v16, v9, v10
	v_add_f16_sdwa v17, v10, v9 dst_sel:DWORD dst_unused:UNUSED_PAD src0_sel:WORD_1 src1_sel:WORD_1
	v_sub_f16_e32 v18, v9, v10
	v_sub_f16_sdwa v9, v9, v10 dst_sel:DWORD dst_unused:UNUSED_PAD src0_sel:WORD_1 src1_sel:WORD_1
	v_mov_b32_e32 v4, 5
	v_add_u32_e32 v7, 0x400, v6
	v_add_u32_e32 v1, 0xa00, v6
	s_movk_i32 s4, 0x3aee
	s_mov_b32 s1, 0xffff
	v_lshl_add_u32 v5, v0, 3, v6
	v_add_u32_e32 v14, 0x798, v5
	s_mov_b32 s5, 0xbaee
	s_mov_b32 s0, 0xe38f
	s_waitcnt vmcnt(1)
	v_lshrrev_b32_e32 v10, 16, v11
	v_fma_f16 v19, v18, v10, v16
	v_fma_f16 v20, v17, v10, v9
	v_fma_f16 v16, -v18, v10, v16
	v_fma_f16 v9, v17, v10, -v9
	v_fma_f16 v10, -v11, v17, v19
	v_fma_f16 v19, v18, v11, v20
	v_fma_f16 v16, v11, v17, v16
	;; [unrolled: 1-line block ×3, first 2 shown]
	v_pack_b32_f16 v10, v10, v19
	v_pack_b32_f16 v9, v16, v9
	ds_write_b32 v6, v10 offset:648
	ds_write_b32 v8, v9 offset:3240
	ds_read_b32 v9, v6 offset:1296
	ds_read_b32 v10, v8 offset:2592
	v_sub_u16_e32 v16, v0, v13
	v_mul_u32_u24_sdwa v11, v16, v4 dst_sel:DWORD dst_unused:UNUSED_PAD src0_sel:BYTE_0 src1_sel:DWORD
	v_lshlrev_b32_e32 v17, 2, v11
	s_waitcnt vmcnt(0)
	v_lshrrev_b32_e32 v11, 16, v12
	s_waitcnt lgkmcnt(0)
	v_add_f16_e32 v13, v9, v10
	v_add_f16_sdwa v18, v10, v9 dst_sel:DWORD dst_unused:UNUSED_PAD src0_sel:WORD_1 src1_sel:WORD_1
	v_sub_f16_e32 v19, v9, v10
	v_sub_f16_sdwa v9, v9, v10 dst_sel:DWORD dst_unused:UNUSED_PAD src0_sel:WORD_1 src1_sel:WORD_1
	v_fma_f16 v10, v19, v11, v13
	v_fma_f16 v20, v18, v11, v9
	v_fma_f16 v13, -v19, v11, v13
	v_fma_f16 v9, v18, v11, -v9
	v_fma_f16 v10, -v12, v18, v10
	v_fma_f16 v11, v19, v12, v20
	v_fma_f16 v13, v12, v18, v13
	;; [unrolled: 1-line block ×3, first 2 shown]
	v_pack_b32_f16 v10, v10, v11
	v_pack_b32_f16 v9, v13, v9
	ds_write_b32 v6, v10 offset:1296
	ds_write_b32 v8, v9 offset:2592
	s_waitcnt lgkmcnt(0)
	s_barrier
	s_barrier
	ds_read2_b32 v[8:9], v6 offset1:162
	ds_read2_b32 v[10:11], v7 offset0:68 offset1:230
	ds_read2_b32 v[12:13], v1 offset0:8 offset1:170
	s_waitcnt lgkmcnt(0)
	s_barrier
	v_pk_add_f16 v18, v8, v10
	v_pk_add_f16 v19, v10, v12
	v_pk_add_f16 v10, v10, v12 neg_lo:[0,1] neg_hi:[0,1]
	v_pk_add_f16 v20, v9, v11
	v_pk_add_f16 v21, v11, v13
	v_pk_add_f16 v11, v11, v13 neg_lo:[0,1] neg_hi:[0,1]
	v_pk_fma_f16 v8, v19, 0.5, v8 op_sel_hi:[1,0,1] neg_lo:[1,0,0] neg_hi:[1,0,0]
	v_pk_mul_f16 v10, v10, s4 op_sel_hi:[1,0]
	v_pk_fma_f16 v9, v21, 0.5, v9 op_sel_hi:[1,0,1] neg_lo:[1,0,0] neg_hi:[1,0,0]
	v_pk_mul_f16 v11, v11, s4 op_sel_hi:[1,0]
	v_pk_add_f16 v12, v18, v12
	v_pk_add_f16 v18, v8, v10 op_sel:[0,1] op_sel_hi:[1,0] neg_lo:[0,1] neg_hi:[0,1]
	v_pk_add_f16 v8, v8, v10 op_sel:[0,1] op_sel_hi:[1,0]
	v_pk_add_f16 v10, v9, v11 op_sel:[0,1] op_sel_hi:[1,0] neg_lo:[0,1] neg_hi:[0,1]
	v_pk_add_f16 v9, v9, v11 op_sel:[0,1] op_sel_hi:[1,0]
	v_bfi_b32 v11, s1, v18, v8
	v_bfi_b32 v8, s1, v8, v18
	;; [unrolled: 1-line block ×4, first 2 shown]
	v_pk_add_f16 v13, v20, v13
	ds_write2_b32 v5, v12, v11 offset1:1
	ds_write_b32 v5, v8 offset:8
	ds_write2_b32 v14, v13, v18 offset1:1
	ds_write_b32 v5, v9 offset:1952
	s_waitcnt lgkmcnt(0)
	s_barrier
	global_load_dwordx4 v[8:11], v17, s[8:9]
	global_load_dword v18, v17, s[8:9] offset:16
	v_mov_b32_e32 v5, 2
	v_mul_u32_u24_e32 v12, 0x48, v15
	v_lshlrev_b32_sdwa v13, v5, v16 dst_sel:DWORD dst_unused:UNUSED_PAD src0_sel:DWORD src1_sel:BYTE_0
	v_add3_u32 v19, 0, v12, v13
	ds_read2_b32 v[12:13], v7 offset0:68 offset1:230
	ds_read2_b32 v[14:15], v6 offset1:162
	ds_read2_b32 v[16:17], v1 offset0:8 offset1:170
	s_waitcnt vmcnt(0) lgkmcnt(0)
	s_barrier
	v_lshrrev_b32_e32 v20, 16, v12
	v_lshrrev_b32_e32 v21, 16, v13
	;; [unrolled: 1-line block ×6, first 2 shown]
	v_mul_f16_sdwa v26, v9, v20 dst_sel:DWORD dst_unused:UNUSED_PAD src0_sel:WORD_1 src1_sel:DWORD
	v_mul_f16_sdwa v28, v10, v21 dst_sel:DWORD dst_unused:UNUSED_PAD src0_sel:WORD_1 src1_sel:DWORD
	;; [unrolled: 1-line block ×3, first 2 shown]
	v_fma_f16 v12, v9, v12, v26
	v_fma_f16 v26, v10, v13, v28
	v_mul_f16_sdwa v13, v10, v13 dst_sel:DWORD dst_unused:UNUSED_PAD src0_sel:WORD_1 src1_sel:DWORD
	v_mul_f16_sdwa v28, v8, v15 dst_sel:DWORD dst_unused:UNUSED_PAD src0_sel:WORD_1 src1_sel:DWORD
	v_fma_f16 v9, v9, v20, -v27
	v_mul_f16_sdwa v20, v8, v22 dst_sel:DWORD dst_unused:UNUSED_PAD src0_sel:WORD_1 src1_sel:DWORD
	v_fma_f16 v10, v10, v21, -v13
	;; [unrolled: 2-line block ×4, first 2 shown]
	v_mul_f16_sdwa v23, v18, v24 dst_sel:DWORD dst_unused:UNUSED_PAD src0_sel:WORD_1 src1_sel:DWORD
	v_fma_f16 v8, v8, v15, v20
	v_fma_f16 v11, v11, v16, v22
	v_mul_f16_sdwa v15, v18, v17 dst_sel:DWORD dst_unused:UNUSED_PAD src0_sel:WORD_1 src1_sel:DWORD
	v_fma_f16 v16, v18, v17, v23
	v_fma_f16 v15, v18, v24, -v15
	v_add_f16_e32 v17, v12, v11
	v_add_f16_e32 v18, v14, v12
	;; [unrolled: 1-line block ×4, first 2 shown]
	v_sub_f16_e32 v27, v10, v15
	v_fma_f16 v14, v17, -0.5, v14
	v_add_f16_e32 v17, v21, v10
	v_add_f16_e32 v10, v10, v15
	v_sub_f16_e32 v12, v12, v11
	v_sub_f16_e32 v20, v9, v13
	v_add_f16_e32 v9, v9, v13
	v_add_f16_e32 v24, v26, v16
	v_sub_f16_e32 v26, v26, v16
	v_add_f16_e32 v11, v18, v11
	v_add_f16_e32 v13, v22, v13
	;; [unrolled: 1-line block ×4, first 2 shown]
	v_fma_f16 v10, v10, -0.5, v21
	v_fma_f16 v9, v9, -0.5, v25
	;; [unrolled: 1-line block ×3, first 2 shown]
	v_fma_f16 v17, v20, s5, v14
	v_fma_f16 v14, v20, s4, v14
	;; [unrolled: 1-line block ×3, first 2 shown]
	v_add_f16_e32 v21, v11, v16
	v_sub_f16_e32 v11, v11, v16
	v_add_f16_e32 v16, v13, v15
	v_fma_f16 v18, v12, s4, v9
	v_fma_f16 v9, v12, s5, v9
	;; [unrolled: 1-line block ×4, first 2 shown]
	v_sub_f16_e32 v13, v13, v15
	v_pack_b32_f16 v15, v21, v16
	v_mul_f16_e32 v16, 0xbaee, v20
	v_mul_f16_e32 v20, 0.5, v20
	v_fma_f16 v8, v27, s4, v8
	v_pack_b32_f16 v11, v11, v13
	v_mul_f16_e32 v13, 0xbaee, v10
	v_mul_f16_e32 v10, -0.5, v10
	v_fma_f16 v16, v12, 0.5, v16
	v_fma_f16 v12, v12, s4, v20
	v_fma_f16 v13, v8, -0.5, v13
	v_fma_f16 v8, v8, s4, v10
	v_add_f16_e32 v10, v17, v16
	v_sub_f16_e32 v16, v17, v16
	v_add_f16_e32 v17, v18, v12
	v_add_f16_e32 v20, v14, v13
	v_sub_f16_e32 v13, v14, v13
	v_add_f16_e32 v14, v9, v8
	v_sub_f16_e32 v12, v18, v12
	v_sub_f16_e32 v8, v9, v8
	v_pack_b32_f16 v9, v10, v17
	v_pack_b32_f16 v10, v20, v14
	ds_write2_b32 v19, v15, v9 offset1:3
	ds_write2_b32 v19, v10, v11 offset0:6 offset1:9
	v_pack_b32_f16 v9, v16, v12
	v_pack_b32_f16 v8, v13, v8
	ds_write2_b32 v19, v9, v8 offset0:12 offset1:15
	v_mov_b32_e32 v8, 57
	v_mul_lo_u16_sdwa v8, v0, v8 dst_sel:DWORD dst_unused:UNUSED_PAD src0_sel:BYTE_0 src1_sel:DWORD
	v_lshrrev_b16_e32 v13, 10, v8
	v_mul_lo_u16_e32 v8, 18, v13
	v_sub_u16_e32 v14, v0, v8
	v_mov_b32_e32 v8, 3
	v_lshlrev_b32_sdwa v8, v8, v14 dst_sel:DWORD dst_unused:UNUSED_PAD src0_sel:DWORD src1_sel:BYTE_0
	s_waitcnt lgkmcnt(0)
	s_barrier
	global_load_dwordx2 v[9:10], v8, s[8:9] offset:60
	v_add_u32_e32 v8, 0xa2, v0
	v_mul_u32_u24_sdwa v11, v8, s0 dst_sel:DWORD dst_unused:UNUSED_PAD src0_sel:WORD_0 src1_sel:DWORD
	v_lshrrev_b32_e32 v19, 20, v11
	v_mul_lo_u16_e32 v11, 18, v19
	v_sub_u16_e32 v20, v8, v11
	v_lshlrev_b32_e32 v11, 3, v20
	global_load_dwordx2 v[11:12], v11, s[8:9] offset:60
	v_mul_u32_u24_e32 v13, 0xd8, v13
	v_lshlrev_b32_sdwa v14, v5, v14 dst_sel:DWORD dst_unused:UNUSED_PAD src0_sel:DWORD src1_sel:BYTE_0
	v_add3_u32 v21, 0, v13, v14
	ds_read2_b32 v[13:14], v7 offset0:68 offset1:230
	ds_read2_b32 v[15:16], v1 offset0:8 offset1:170
	ds_read2_b32 v[17:18], v6 offset1:162
	s_waitcnt vmcnt(0) lgkmcnt(0)
	s_barrier
	v_lshrrev_b32_e32 v22, 16, v13
	v_lshrrev_b32_e32 v23, 16, v15
	v_lshrrev_b32_e32 v24, 16, v14
	v_lshrrev_b32_e32 v25, 16, v16
	v_lshrrev_b32_e32 v26, 16, v18
	v_mul_f16_sdwa v27, v9, v13 dst_sel:DWORD dst_unused:UNUSED_PAD src0_sel:WORD_1 src1_sel:DWORD
	v_mul_f16_sdwa v28, v9, v22 dst_sel:DWORD dst_unused:UNUSED_PAD src0_sel:WORD_1 src1_sel:DWORD
	v_fma_f16 v22, v9, v22, -v27
	v_mul_f16_sdwa v27, v10, v15 dst_sel:DWORD dst_unused:UNUSED_PAD src0_sel:WORD_1 src1_sel:DWORD
	v_fma_f16 v27, v10, v23, -v27
	v_mul_f16_sdwa v23, v10, v23 dst_sel:DWORD dst_unused:UNUSED_PAD src0_sel:WORD_1 src1_sel:DWORD
	v_fma_f16 v10, v10, v15, v23
	v_mul_f16_sdwa v15, v11, v24 dst_sel:DWORD dst_unused:UNUSED_PAD src0_sel:WORD_1 src1_sel:DWORD
	v_mul_f16_sdwa v23, v12, v25 dst_sel:DWORD dst_unused:UNUSED_PAD src0_sel:WORD_1 src1_sel:DWORD
	v_fma_f16 v15, v11, v14, v15
	v_fma_f16 v23, v12, v16, v23
	v_mul_f16_sdwa v16, v12, v16 dst_sel:DWORD dst_unused:UNUSED_PAD src0_sel:WORD_1 src1_sel:DWORD
	v_fma_f16 v9, v9, v13, v28
	v_mul_f16_sdwa v14, v11, v14 dst_sel:DWORD dst_unused:UNUSED_PAD src0_sel:WORD_1 src1_sel:DWORD
	v_fma_f16 v12, v12, v25, -v16
	v_add_f16_e32 v16, v15, v23
	v_lshrrev_b32_e32 v13, 16, v17
	v_fma_f16 v11, v11, v24, -v14
	v_add_f16_e32 v14, v9, v10
	v_add_f16_e32 v24, v9, v17
	;; [unrolled: 1-line block ×3, first 2 shown]
	v_fma_f16 v16, v16, -0.5, v18
	v_add_f16_e32 v18, v22, v27
	v_sub_f16_e32 v9, v9, v10
	v_sub_f16_e32 v28, v22, v27
	v_fma_f16 v14, v14, -0.5, v17
	v_add_f16_e32 v17, v22, v13
	v_sub_f16_e32 v22, v11, v12
	v_add_f16_e32 v10, v24, v10
	v_add_f16_e32 v24, v26, v11
	;; [unrolled: 1-line block ×3, first 2 shown]
	v_fma_f16 v13, v18, -0.5, v13
	v_sub_f16_e32 v15, v15, v23
	v_add_f16_e32 v17, v17, v27
	v_add_f16_e32 v18, v25, v23
	;; [unrolled: 1-line block ×3, first 2 shown]
	v_fma_f16 v11, v11, -0.5, v26
	v_fma_f16 v23, v28, s5, v14
	v_fma_f16 v14, v28, s4, v14
	;; [unrolled: 1-line block ×8, first 2 shown]
	v_pack_b32_f16 v10, v10, v17
	v_pack_b32_f16 v15, v23, v24
	;; [unrolled: 1-line block ×3, first 2 shown]
	ds_write2_b32 v21, v10, v15 offset1:18
	ds_write_b32 v21, v9 offset:144
	v_mul_u32_u24_e32 v9, 0xd8, v19
	v_lshlrev_b32_e32 v10, 2, v20
	v_add3_u32 v9, 0, v9, v10
	v_pack_b32_f16 v10, v18, v12
	v_pack_b32_f16 v12, v13, v22
	ds_write2_b32 v9, v10, v12 offset1:18
	v_pack_b32_f16 v10, v16, v11
	ds_write_b32 v9, v10 offset:144
	v_mov_b32_e32 v9, 19
	v_mul_lo_u16_sdwa v9, v0, v9 dst_sel:DWORD dst_unused:UNUSED_PAD src0_sel:BYTE_0 src1_sel:DWORD
	v_lshrrev_b16_e32 v19, 10, v9
	v_mul_lo_u16_e32 v9, 54, v19
	v_sub_u16_e32 v20, v0, v9
	v_mul_u32_u24_sdwa v4, v20, v4 dst_sel:DWORD dst_unused:UNUSED_PAD src0_sel:BYTE_0 src1_sel:DWORD
	v_lshlrev_b32_e32 v4, 2, v4
	s_waitcnt lgkmcnt(0)
	s_barrier
	global_load_dwordx4 v[9:12], v4, s[8:9] offset:204
	global_load_dword v21, v4, s[8:9] offset:220
	ds_read2_b32 v[13:14], v7 offset0:68 offset1:230
	ds_read2_b32 v[15:16], v6 offset1:162
	ds_read2_b32 v[17:18], v1 offset0:8 offset1:170
	v_lshlrev_b32_sdwa v5, v5, v20 dst_sel:DWORD dst_unused:UNUSED_PAD src0_sel:DWORD src1_sel:BYTE_0
	s_waitcnt lgkmcnt(0)
	v_lshrrev_b32_e32 v4, 16, v13
	v_lshrrev_b32_e32 v22, 16, v14
	;; [unrolled: 1-line block ×5, first 2 shown]
	s_waitcnt vmcnt(0)
	s_barrier
	v_mul_f16_sdwa v26, v10, v4 dst_sel:DWORD dst_unused:UNUSED_PAD src0_sel:WORD_1 src1_sel:DWORD
	v_mul_f16_sdwa v27, v11, v22 dst_sel:DWORD dst_unused:UNUSED_PAD src0_sel:WORD_1 src1_sel:DWORD
	;; [unrolled: 1-line block ×3, first 2 shown]
	v_fma_f16 v13, v10, v13, v26
	v_fma_f16 v26, v11, v14, v27
	v_mul_f16_sdwa v14, v11, v14 dst_sel:DWORD dst_unused:UNUSED_PAD src0_sel:WORD_1 src1_sel:DWORD
	v_fma_f16 v4, v10, v4, -v28
	v_mul_f16_sdwa v10, v9, v16 dst_sel:DWORD dst_unused:UNUSED_PAD src0_sel:WORD_1 src1_sel:DWORD
	v_fma_f16 v11, v11, v22, -v14
	;; [unrolled: 2-line block ×3, first 2 shown]
	v_mul_f16_sdwa v22, v12, v17 dst_sel:DWORD dst_unused:UNUSED_PAD src0_sel:WORD_1 src1_sel:DWORD
	v_mul_f16_sdwa v23, v12, v24 dst_sel:DWORD dst_unused:UNUSED_PAD src0_sel:WORD_1 src1_sel:DWORD
	v_fma_f16 v22, v12, v24, -v22
	v_fma_f16 v9, v9, v16, v14
	v_fma_f16 v12, v12, v17, v23
	v_mul_f16_sdwa v14, v21, v25 dst_sel:DWORD dst_unused:UNUSED_PAD src0_sel:WORD_1 src1_sel:DWORD
	v_mul_f16_sdwa v16, v21, v18 dst_sel:DWORD dst_unused:UNUSED_PAD src0_sel:WORD_1 src1_sel:DWORD
	v_lshrrev_b32_e32 v27, 16, v15
	v_fma_f16 v14, v21, v18, v14
	v_fma_f16 v16, v21, v25, -v16
	v_add_f16_e32 v17, v13, v12
	v_add_f16_e32 v18, v15, v13
	v_sub_f16_e32 v21, v4, v22
	v_add_f16_e32 v23, v27, v4
	v_add_f16_e32 v4, v4, v22
	;; [unrolled: 1-line block ×3, first 2 shown]
	v_fma_f16 v15, v17, -0.5, v15
	v_sub_f16_e32 v17, v11, v16
	v_add_f16_e32 v28, v10, v11
	v_add_f16_e32 v11, v11, v16
	v_sub_f16_e32 v13, v13, v12
	v_add_f16_e32 v24, v9, v26
	v_sub_f16_e32 v26, v26, v14
	v_fma_f16 v4, v4, -0.5, v27
	v_fma_f16 v9, v25, -0.5, v9
	;; [unrolled: 1-line block ×3, first 2 shown]
	v_fma_f16 v11, v21, s5, v15
	v_fma_f16 v15, v21, s4, v15
	;; [unrolled: 1-line block ×8, first 2 shown]
	v_add_f16_e32 v12, v18, v12
	v_add_f16_e32 v18, v23, v22
	v_add_f16_e32 v14, v24, v14
	v_mul_f16_e32 v23, 0xbaee, v17
	v_mul_f16_e32 v17, 0.5, v17
	v_mul_f16_e32 v24, 0xbaee, v10
	v_mul_f16_e32 v10, -0.5, v10
	v_add_f16_e32 v16, v28, v16
	v_fma_f16 v23, v13, 0.5, v23
	v_fma_f16 v13, v13, s4, v17
	v_fma_f16 v17, v9, -0.5, v24
	v_fma_f16 v9, v9, s4, v10
	v_add_f16_e32 v22, v12, v14
	v_sub_f16_e32 v10, v12, v14
	v_add_f16_e32 v12, v11, v23
	v_add_f16_e32 v14, v15, v17
	v_sub_f16_e32 v15, v15, v17
	v_add_f16_e32 v17, v18, v16
	v_sub_f16_e32 v16, v18, v16
	;; [unrolled: 2-line block ×4, first 2 shown]
	v_mul_u32_u24_e32 v9, 0x510, v19
	v_add3_u32 v5, 0, v9, v5
	v_pack_b32_f16 v9, v22, v17
	v_pack_b32_f16 v12, v12, v18
	v_sub_f16_e32 v11, v11, v23
	ds_write2_b32 v5, v9, v12 offset1:54
	v_pack_b32_f16 v9, v14, v21
	v_pack_b32_f16 v10, v10, v16
	ds_write2_b32 v5, v9, v10 offset0:108 offset1:162
	v_pack_b32_f16 v9, v11, v13
	v_pack_b32_f16 v4, v15, v4
	v_add_u32_e32 v5, 0x200, v5
	ds_write2_b32 v5, v9, v4 offset0:88 offset1:142
	v_lshlrev_b32_e32 v4, 1, v0
	v_mov_b32_e32 v5, 0
	v_lshlrev_b64 v[9:10], 2, v[4:5]
	v_mov_b32_e32 v4, s9
	v_add_co_u32_e64 v9, s[0:1], s8, v9
	v_addc_co_u32_e64 v10, s[0:1], v4, v10, s[0:1]
	v_lshlrev_b32_e32 v4, 1, v8
	v_lshlrev_b64 v[11:12], 2, v[4:5]
	v_mov_b32_e32 v4, s9
	v_add_co_u32_e64 v11, s[0:1], s8, v11
	s_waitcnt lgkmcnt(0)
	s_barrier
	global_load_dwordx2 v[9:10], v[9:10], off offset:1284
	v_addc_co_u32_e64 v12, s[0:1], v4, v12, s[0:1]
	global_load_dwordx2 v[11:12], v[11:12], off offset:1284
	ds_read2_b32 v[13:14], v7 offset0:68 offset1:230
	ds_read2_b32 v[15:16], v1 offset0:8 offset1:170
	ds_read2_b32 v[17:18], v6 offset1:162
	s_waitcnt vmcnt(0) lgkmcnt(0)
	s_barrier
	v_lshrrev_b32_e32 v4, 16, v13
	v_lshrrev_b32_e32 v8, 16, v15
	;; [unrolled: 1-line block ×5, first 2 shown]
	v_mul_f16_sdwa v22, v9, v4 dst_sel:DWORD dst_unused:UNUSED_PAD src0_sel:WORD_1 src1_sel:DWORD
	v_mul_f16_sdwa v23, v9, v13 dst_sel:DWORD dst_unused:UNUSED_PAD src0_sel:WORD_1 src1_sel:DWORD
	;; [unrolled: 1-line block ×6, first 2 shown]
	v_fma_f16 v4, v9, v4, -v23
	v_mul_f16_sdwa v23, v12, v20 dst_sel:DWORD dst_unused:UNUSED_PAD src0_sel:WORD_1 src1_sel:DWORD
	v_fma_f16 v8, v10, v8, -v24
	v_mul_f16_sdwa v24, v12, v16 dst_sel:DWORD dst_unused:UNUSED_PAD src0_sel:WORD_1 src1_sel:DWORD
	v_fma_f16 v9, v9, v13, v22
	v_fma_f16 v10, v10, v15, v25
	;; [unrolled: 1-line block ×3, first 2 shown]
	v_fma_f16 v11, v11, v19, -v27
	v_fma_f16 v14, v12, v16, v23
	v_fma_f16 v12, v12, v20, -v24
	v_add_f16_e32 v15, v9, v17
	v_add_f16_e32 v16, v9, v10
	v_sub_f16_e32 v19, v4, v8
	v_add_f16_e32 v20, v4, v21
	v_add_f16_e32 v4, v4, v8
	v_sub_f16_e32 v9, v9, v10
	v_add_f16_e32 v22, v13, v14
	v_add_f16_e32 v10, v15, v10
	v_fma_f16 v15, v16, -0.5, v17
	v_fma_f16 v4, v4, -0.5, v21
	v_add_f16_e32 v8, v20, v8
	v_fma_f16 v16, v22, -0.5, v18
	v_fma_f16 v17, v19, s5, v15
	v_fma_f16 v15, v19, s4, v15
	;; [unrolled: 1-line block ×4, first 2 shown]
	v_lshrrev_b32_e32 v9, 16, v18
	v_sub_f16_e32 v20, v11, v12
	v_add_f16_e32 v18, v18, v13
	v_fma_f16 v21, v20, s5, v16
	v_fma_f16 v16, v20, s4, v16
	v_add_f16_e32 v20, v9, v11
	v_add_f16_e32 v11, v11, v12
	;; [unrolled: 1-line block ×3, first 2 shown]
	v_fma_f16 v9, v11, -0.5, v9
	v_add_f16_e32 v11, v18, v14
	v_sub_f16_e32 v12, v13, v14
	v_fma_f16 v13, v12, s4, v9
	v_pack_b32_f16 v8, v10, v8
	v_pack_b32_f16 v11, v11, v20
	v_fma_f16 v9, v12, s5, v9
	v_pack_b32_f16 v10, v17, v19
	ds_write2_b32 v6, v8, v11 offset1:162
	v_pack_b32_f16 v6, v21, v13
	v_pack_b32_f16 v4, v15, v4
	ds_write2_b32 v7, v10, v6 offset0:68 offset1:230
	v_pack_b32_f16 v6, v16, v9
	ds_write2_b32 v1, v4, v6 offset0:8 offset1:170
	s_waitcnt lgkmcnt(0)
	s_barrier
	s_and_saveexec_b64 s[0:1], vcc
	s_cbranch_execz .LBB0_19
; %bb.18:
	v_lshl_add_u32 v8, v0, 2, 0
	v_mov_b32_e32 v1, v5
	ds_read2_b32 v[6:7], v8 offset1:162
	v_mov_b32_e32 v4, s3
	v_add_co_u32_e32 v9, vcc, s2, v2
	v_lshlrev_b64 v[1:2], 2, v[0:1]
	v_addc_co_u32_e32 v10, vcc, v4, v3, vcc
	v_add_co_u32_e32 v1, vcc, v9, v1
	v_addc_co_u32_e32 v2, vcc, v10, v2, vcc
	v_add_u32_e32 v4, 0xa2, v0
	s_waitcnt lgkmcnt(0)
	global_store_dword v[1:2], v6, off
	v_lshlrev_b64 v[1:2], 2, v[4:5]
	v_add_u32_e32 v4, 0x144, v0
	v_add_co_u32_e32 v1, vcc, v9, v1
	v_addc_co_u32_e32 v2, vcc, v10, v2, vcc
	global_store_dword v[1:2], v7, off
	v_add_u32_e32 v1, 0x400, v8
	ds_read2_b32 v[1:2], v1 offset0:68 offset1:230
	v_lshlrev_b64 v[3:4], 2, v[4:5]
	v_add_co_u32_e32 v3, vcc, v9, v3
	v_addc_co_u32_e32 v4, vcc, v10, v4, vcc
	s_waitcnt lgkmcnt(0)
	global_store_dword v[3:4], v1, off
	v_add_u32_e32 v4, 0x1e6, v0
	v_lshlrev_b64 v[3:4], 2, v[4:5]
	v_add_u32_e32 v1, 0xa00, v8
	v_add_co_u32_e32 v3, vcc, v9, v3
	v_addc_co_u32_e32 v4, vcc, v10, v4, vcc
	global_store_dword v[3:4], v2, off
	v_add_u32_e32 v4, 0x288, v0
	ds_read2_b32 v[1:2], v1 offset0:8 offset1:170
	v_lshlrev_b64 v[3:4], 2, v[4:5]
	v_add_co_u32_e32 v3, vcc, v9, v3
	v_addc_co_u32_e32 v4, vcc, v10, v4, vcc
	s_waitcnt lgkmcnt(0)
	global_store_dword v[3:4], v1, off
	v_add_u32_e32 v4, 0x32a, v0
	v_lshlrev_b64 v[0:1], 2, v[4:5]
	v_add_co_u32_e32 v0, vcc, v9, v0
	v_addc_co_u32_e32 v1, vcc, v10, v1, vcc
	global_store_dword v[0:1], v2, off
.LBB0_19:
	s_endpgm
	.section	.rodata,"a",@progbits
	.p2align	6, 0x0
	.amdhsa_kernel fft_rtc_back_len972_factors_3_6_3_6_3_wgs_162_tpt_162_halfLds_half_ip_CI_unitstride_sbrr_C2R_dirReg
		.amdhsa_group_segment_fixed_size 0
		.amdhsa_private_segment_fixed_size 0
		.amdhsa_kernarg_size 88
		.amdhsa_user_sgpr_count 6
		.amdhsa_user_sgpr_private_segment_buffer 1
		.amdhsa_user_sgpr_dispatch_ptr 0
		.amdhsa_user_sgpr_queue_ptr 0
		.amdhsa_user_sgpr_kernarg_segment_ptr 1
		.amdhsa_user_sgpr_dispatch_id 0
		.amdhsa_user_sgpr_flat_scratch_init 0
		.amdhsa_user_sgpr_private_segment_size 0
		.amdhsa_uses_dynamic_stack 0
		.amdhsa_system_sgpr_private_segment_wavefront_offset 0
		.amdhsa_system_sgpr_workgroup_id_x 1
		.amdhsa_system_sgpr_workgroup_id_y 0
		.amdhsa_system_sgpr_workgroup_id_z 0
		.amdhsa_system_sgpr_workgroup_info 0
		.amdhsa_system_vgpr_workitem_id 0
		.amdhsa_next_free_vgpr 29
		.amdhsa_next_free_sgpr 22
		.amdhsa_reserve_vcc 1
		.amdhsa_reserve_flat_scratch 0
		.amdhsa_float_round_mode_32 0
		.amdhsa_float_round_mode_16_64 0
		.amdhsa_float_denorm_mode_32 3
		.amdhsa_float_denorm_mode_16_64 3
		.amdhsa_dx10_clamp 1
		.amdhsa_ieee_mode 1
		.amdhsa_fp16_overflow 0
		.amdhsa_exception_fp_ieee_invalid_op 0
		.amdhsa_exception_fp_denorm_src 0
		.amdhsa_exception_fp_ieee_div_zero 0
		.amdhsa_exception_fp_ieee_overflow 0
		.amdhsa_exception_fp_ieee_underflow 0
		.amdhsa_exception_fp_ieee_inexact 0
		.amdhsa_exception_int_div_zero 0
	.end_amdhsa_kernel
	.text
.Lfunc_end0:
	.size	fft_rtc_back_len972_factors_3_6_3_6_3_wgs_162_tpt_162_halfLds_half_ip_CI_unitstride_sbrr_C2R_dirReg, .Lfunc_end0-fft_rtc_back_len972_factors_3_6_3_6_3_wgs_162_tpt_162_halfLds_half_ip_CI_unitstride_sbrr_C2R_dirReg
                                        ; -- End function
	.section	.AMDGPU.csdata,"",@progbits
; Kernel info:
; codeLenInByte = 4948
; NumSgprs: 26
; NumVgprs: 29
; ScratchSize: 0
; MemoryBound: 0
; FloatMode: 240
; IeeeMode: 1
; LDSByteSize: 0 bytes/workgroup (compile time only)
; SGPRBlocks: 3
; VGPRBlocks: 7
; NumSGPRsForWavesPerEU: 26
; NumVGPRsForWavesPerEU: 29
; Occupancy: 8
; WaveLimiterHint : 1
; COMPUTE_PGM_RSRC2:SCRATCH_EN: 0
; COMPUTE_PGM_RSRC2:USER_SGPR: 6
; COMPUTE_PGM_RSRC2:TRAP_HANDLER: 0
; COMPUTE_PGM_RSRC2:TGID_X_EN: 1
; COMPUTE_PGM_RSRC2:TGID_Y_EN: 0
; COMPUTE_PGM_RSRC2:TGID_Z_EN: 0
; COMPUTE_PGM_RSRC2:TIDIG_COMP_CNT: 0
	.type	__hip_cuid_686125894df9d7c2,@object ; @__hip_cuid_686125894df9d7c2
	.section	.bss,"aw",@nobits
	.globl	__hip_cuid_686125894df9d7c2
__hip_cuid_686125894df9d7c2:
	.byte	0                               ; 0x0
	.size	__hip_cuid_686125894df9d7c2, 1

	.ident	"AMD clang version 19.0.0git (https://github.com/RadeonOpenCompute/llvm-project roc-6.4.0 25133 c7fe45cf4b819c5991fe208aaa96edf142730f1d)"
	.section	".note.GNU-stack","",@progbits
	.addrsig
	.addrsig_sym __hip_cuid_686125894df9d7c2
	.amdgpu_metadata
---
amdhsa.kernels:
  - .args:
      - .actual_access:  read_only
        .address_space:  global
        .offset:         0
        .size:           8
        .value_kind:     global_buffer
      - .offset:         8
        .size:           8
        .value_kind:     by_value
      - .actual_access:  read_only
        .address_space:  global
        .offset:         16
        .size:           8
        .value_kind:     global_buffer
      - .actual_access:  read_only
        .address_space:  global
        .offset:         24
        .size:           8
        .value_kind:     global_buffer
      - .offset:         32
        .size:           8
        .value_kind:     by_value
      - .actual_access:  read_only
        .address_space:  global
        .offset:         40
        .size:           8
        .value_kind:     global_buffer
      - .actual_access:  read_only
        .address_space:  global
        .offset:         48
        .size:           8
        .value_kind:     global_buffer
      - .offset:         56
        .size:           4
        .value_kind:     by_value
      - .actual_access:  read_only
        .address_space:  global
        .offset:         64
        .size:           8
        .value_kind:     global_buffer
      - .actual_access:  read_only
        .address_space:  global
        .offset:         72
        .size:           8
        .value_kind:     global_buffer
      - .address_space:  global
        .offset:         80
        .size:           8
        .value_kind:     global_buffer
    .group_segment_fixed_size: 0
    .kernarg_segment_align: 8
    .kernarg_segment_size: 88
    .language:       OpenCL C
    .language_version:
      - 2
      - 0
    .max_flat_workgroup_size: 162
    .name:           fft_rtc_back_len972_factors_3_6_3_6_3_wgs_162_tpt_162_halfLds_half_ip_CI_unitstride_sbrr_C2R_dirReg
    .private_segment_fixed_size: 0
    .sgpr_count:     26
    .sgpr_spill_count: 0
    .symbol:         fft_rtc_back_len972_factors_3_6_3_6_3_wgs_162_tpt_162_halfLds_half_ip_CI_unitstride_sbrr_C2R_dirReg.kd
    .uniform_work_group_size: 1
    .uses_dynamic_stack: false
    .vgpr_count:     29
    .vgpr_spill_count: 0
    .wavefront_size: 64
amdhsa.target:   amdgcn-amd-amdhsa--gfx906
amdhsa.version:
  - 1
  - 2
...

	.end_amdgpu_metadata
